;; amdgpu-corpus repo=ROCm/rocFFT kind=compiled arch=gfx906 opt=O3
	.text
	.amdgcn_target "amdgcn-amd-amdhsa--gfx906"
	.amdhsa_code_object_version 6
	.protected	fft_rtc_back_len2304_factors_6_6_4_4_4_wgs_192_tpt_192_halfLds_dp_ip_CI_sbrr_dirReg ; -- Begin function fft_rtc_back_len2304_factors_6_6_4_4_4_wgs_192_tpt_192_halfLds_dp_ip_CI_sbrr_dirReg
	.globl	fft_rtc_back_len2304_factors_6_6_4_4_4_wgs_192_tpt_192_halfLds_dp_ip_CI_sbrr_dirReg
	.p2align	8
	.type	fft_rtc_back_len2304_factors_6_6_4_4_4_wgs_192_tpt_192_halfLds_dp_ip_CI_sbrr_dirReg,@function
fft_rtc_back_len2304_factors_6_6_4_4_4_wgs_192_tpt_192_halfLds_dp_ip_CI_sbrr_dirReg: ; @fft_rtc_back_len2304_factors_6_6_4_4_4_wgs_192_tpt_192_halfLds_dp_ip_CI_sbrr_dirReg
; %bb.0:
	s_load_dwordx2 s[14:15], s[4:5], 0x18
	s_load_dwordx4 s[8:11], s[4:5], 0x0
	s_load_dwordx2 s[12:13], s[4:5], 0x50
	v_mul_u32_u24_e32 v1, 0x156, v0
	v_add_u32_sdwa v5, s6, v1 dst_sel:DWORD dst_unused:UNUSED_PAD src0_sel:DWORD src1_sel:WORD_1
	s_waitcnt lgkmcnt(0)
	s_load_dwordx2 s[2:3], s[14:15], 0x0
	v_cmp_lt_u64_e64 s[0:1], s[10:11], 2
	v_mov_b32_e32 v3, 0
	v_mov_b32_e32 v1, 0
	;; [unrolled: 1-line block ×3, first 2 shown]
	s_and_b64 vcc, exec, s[0:1]
	v_mov_b32_e32 v2, 0
	s_cbranch_vccnz .LBB0_8
; %bb.1:
	s_load_dwordx2 s[0:1], s[4:5], 0x10
	s_add_u32 s6, s14, 8
	s_addc_u32 s7, s15, 0
	v_mov_b32_e32 v1, 0
	v_mov_b32_e32 v2, 0
	s_waitcnt lgkmcnt(0)
	s_add_u32 s16, s0, 8
	s_addc_u32 s17, s1, 0
	s_mov_b64 s[18:19], 1
.LBB0_2:                                ; =>This Inner Loop Header: Depth=1
	s_load_dwordx2 s[20:21], s[16:17], 0x0
                                        ; implicit-def: $vgpr7_vgpr8
	s_waitcnt lgkmcnt(0)
	v_or_b32_e32 v4, s21, v6
	v_cmp_ne_u64_e32 vcc, 0, v[3:4]
	s_and_saveexec_b64 s[0:1], vcc
	s_xor_b64 s[22:23], exec, s[0:1]
	s_cbranch_execz .LBB0_4
; %bb.3:                                ;   in Loop: Header=BB0_2 Depth=1
	v_cvt_f32_u32_e32 v4, s20
	v_cvt_f32_u32_e32 v7, s21
	s_sub_u32 s0, 0, s20
	s_subb_u32 s1, 0, s21
	v_mac_f32_e32 v4, 0x4f800000, v7
	v_rcp_f32_e32 v4, v4
	v_mul_f32_e32 v4, 0x5f7ffffc, v4
	v_mul_f32_e32 v7, 0x2f800000, v4
	v_trunc_f32_e32 v7, v7
	v_mac_f32_e32 v4, 0xcf800000, v7
	v_cvt_u32_f32_e32 v7, v7
	v_cvt_u32_f32_e32 v4, v4
	v_mul_lo_u32 v8, s0, v7
	v_mul_hi_u32 v9, s0, v4
	v_mul_lo_u32 v11, s1, v4
	v_mul_lo_u32 v10, s0, v4
	v_add_u32_e32 v8, v9, v8
	v_add_u32_e32 v8, v8, v11
	v_mul_hi_u32 v9, v4, v10
	v_mul_lo_u32 v11, v4, v8
	v_mul_hi_u32 v13, v4, v8
	v_mul_hi_u32 v12, v7, v10
	v_mul_lo_u32 v10, v7, v10
	v_mul_hi_u32 v14, v7, v8
	v_add_co_u32_e32 v9, vcc, v9, v11
	v_addc_co_u32_e32 v11, vcc, 0, v13, vcc
	v_mul_lo_u32 v8, v7, v8
	v_add_co_u32_e32 v9, vcc, v9, v10
	v_addc_co_u32_e32 v9, vcc, v11, v12, vcc
	v_addc_co_u32_e32 v10, vcc, 0, v14, vcc
	v_add_co_u32_e32 v8, vcc, v9, v8
	v_addc_co_u32_e32 v9, vcc, 0, v10, vcc
	v_add_co_u32_e32 v4, vcc, v4, v8
	v_addc_co_u32_e32 v7, vcc, v7, v9, vcc
	v_mul_lo_u32 v8, s0, v7
	v_mul_hi_u32 v9, s0, v4
	v_mul_lo_u32 v10, s1, v4
	v_mul_lo_u32 v11, s0, v4
	v_add_u32_e32 v8, v9, v8
	v_add_u32_e32 v8, v8, v10
	v_mul_lo_u32 v12, v4, v8
	v_mul_hi_u32 v13, v4, v11
	v_mul_hi_u32 v14, v4, v8
	;; [unrolled: 1-line block ×3, first 2 shown]
	v_mul_lo_u32 v11, v7, v11
	v_mul_hi_u32 v9, v7, v8
	v_add_co_u32_e32 v12, vcc, v13, v12
	v_addc_co_u32_e32 v13, vcc, 0, v14, vcc
	v_mul_lo_u32 v8, v7, v8
	v_add_co_u32_e32 v11, vcc, v12, v11
	v_addc_co_u32_e32 v10, vcc, v13, v10, vcc
	v_addc_co_u32_e32 v9, vcc, 0, v9, vcc
	v_add_co_u32_e32 v8, vcc, v10, v8
	v_addc_co_u32_e32 v9, vcc, 0, v9, vcc
	v_add_co_u32_e32 v4, vcc, v4, v8
	v_addc_co_u32_e32 v9, vcc, v7, v9, vcc
	v_mad_u64_u32 v[7:8], s[0:1], v5, v9, 0
	v_mul_hi_u32 v10, v5, v4
	v_add_co_u32_e32 v11, vcc, v10, v7
	v_addc_co_u32_e32 v12, vcc, 0, v8, vcc
	v_mad_u64_u32 v[7:8], s[0:1], v6, v4, 0
	v_mad_u64_u32 v[9:10], s[0:1], v6, v9, 0
	v_add_co_u32_e32 v4, vcc, v11, v7
	v_addc_co_u32_e32 v4, vcc, v12, v8, vcc
	v_addc_co_u32_e32 v7, vcc, 0, v10, vcc
	v_add_co_u32_e32 v4, vcc, v4, v9
	v_addc_co_u32_e32 v9, vcc, 0, v7, vcc
	v_mul_lo_u32 v10, s21, v4
	v_mul_lo_u32 v11, s20, v9
	v_mad_u64_u32 v[7:8], s[0:1], s20, v4, 0
	v_add3_u32 v8, v8, v11, v10
	v_sub_u32_e32 v10, v6, v8
	v_mov_b32_e32 v11, s21
	v_sub_co_u32_e32 v7, vcc, v5, v7
	v_subb_co_u32_e64 v10, s[0:1], v10, v11, vcc
	v_subrev_co_u32_e64 v11, s[0:1], s20, v7
	v_subbrev_co_u32_e64 v10, s[0:1], 0, v10, s[0:1]
	v_cmp_le_u32_e64 s[0:1], s21, v10
	v_cndmask_b32_e64 v12, 0, -1, s[0:1]
	v_cmp_le_u32_e64 s[0:1], s20, v11
	v_cndmask_b32_e64 v11, 0, -1, s[0:1]
	v_cmp_eq_u32_e64 s[0:1], s21, v10
	v_cndmask_b32_e64 v10, v12, v11, s[0:1]
	v_add_co_u32_e64 v11, s[0:1], 2, v4
	v_addc_co_u32_e64 v12, s[0:1], 0, v9, s[0:1]
	v_add_co_u32_e64 v13, s[0:1], 1, v4
	v_addc_co_u32_e64 v14, s[0:1], 0, v9, s[0:1]
	v_subb_co_u32_e32 v8, vcc, v6, v8, vcc
	v_cmp_ne_u32_e64 s[0:1], 0, v10
	v_cmp_le_u32_e32 vcc, s21, v8
	v_cndmask_b32_e64 v10, v14, v12, s[0:1]
	v_cndmask_b32_e64 v12, 0, -1, vcc
	v_cmp_le_u32_e32 vcc, s20, v7
	v_cndmask_b32_e64 v7, 0, -1, vcc
	v_cmp_eq_u32_e32 vcc, s21, v8
	v_cndmask_b32_e32 v7, v12, v7, vcc
	v_cmp_ne_u32_e32 vcc, 0, v7
	v_cndmask_b32_e64 v7, v13, v11, s[0:1]
	v_cndmask_b32_e32 v8, v9, v10, vcc
	v_cndmask_b32_e32 v7, v4, v7, vcc
.LBB0_4:                                ;   in Loop: Header=BB0_2 Depth=1
	s_andn2_saveexec_b64 s[0:1], s[22:23]
	s_cbranch_execz .LBB0_6
; %bb.5:                                ;   in Loop: Header=BB0_2 Depth=1
	v_cvt_f32_u32_e32 v4, s20
	s_sub_i32 s22, 0, s20
	v_rcp_iflag_f32_e32 v4, v4
	v_mul_f32_e32 v4, 0x4f7ffffe, v4
	v_cvt_u32_f32_e32 v4, v4
	v_mul_lo_u32 v7, s22, v4
	v_mul_hi_u32 v7, v4, v7
	v_add_u32_e32 v4, v4, v7
	v_mul_hi_u32 v4, v5, v4
	v_mul_lo_u32 v7, v4, s20
	v_add_u32_e32 v8, 1, v4
	v_sub_u32_e32 v7, v5, v7
	v_subrev_u32_e32 v9, s20, v7
	v_cmp_le_u32_e32 vcc, s20, v7
	v_cndmask_b32_e32 v7, v7, v9, vcc
	v_cndmask_b32_e32 v4, v4, v8, vcc
	v_add_u32_e32 v8, 1, v4
	v_cmp_le_u32_e32 vcc, s20, v7
	v_cndmask_b32_e32 v7, v4, v8, vcc
	v_mov_b32_e32 v8, v3
.LBB0_6:                                ;   in Loop: Header=BB0_2 Depth=1
	s_or_b64 exec, exec, s[0:1]
	v_mul_lo_u32 v4, v8, s20
	v_mul_lo_u32 v11, v7, s21
	v_mad_u64_u32 v[9:10], s[0:1], v7, s20, 0
	s_load_dwordx2 s[0:1], s[6:7], 0x0
	s_add_u32 s18, s18, 1
	v_add3_u32 v4, v10, v11, v4
	v_sub_co_u32_e32 v5, vcc, v5, v9
	v_subb_co_u32_e32 v4, vcc, v6, v4, vcc
	s_waitcnt lgkmcnt(0)
	v_mul_lo_u32 v4, s0, v4
	v_mul_lo_u32 v6, s1, v5
	v_mad_u64_u32 v[1:2], s[0:1], s0, v5, v[1:2]
	s_addc_u32 s19, s19, 0
	s_add_u32 s6, s6, 8
	v_add3_u32 v2, v6, v2, v4
	v_mov_b32_e32 v4, s10
	v_mov_b32_e32 v5, s11
	s_addc_u32 s7, s7, 0
	v_cmp_ge_u64_e32 vcc, s[18:19], v[4:5]
	s_add_u32 s16, s16, 8
	s_addc_u32 s17, s17, 0
	s_cbranch_vccnz .LBB0_9
; %bb.7:                                ;   in Loop: Header=BB0_2 Depth=1
	v_mov_b32_e32 v5, v7
	v_mov_b32_e32 v6, v8
	s_branch .LBB0_2
.LBB0_8:
	v_mov_b32_e32 v8, v6
	v_mov_b32_e32 v7, v5
.LBB0_9:
	s_lshl_b64 s[0:1], s[10:11], 3
	s_add_u32 s0, s14, s0
	s_addc_u32 s1, s15, s1
	s_load_dwordx2 s[6:7], s[0:1], 0x0
	s_load_dwordx2 s[10:11], s[4:5], 0x20
                                        ; implicit-def: $vgpr51
                                        ; implicit-def: $vgpr52
	s_waitcnt lgkmcnt(0)
	v_mad_u64_u32 v[1:2], s[0:1], s6, v7, v[1:2]
	s_mov_b32 s0, 0x1555556
	v_mul_lo_u32 v3, s6, v8
	v_mul_lo_u32 v4, s7, v7
	v_mul_hi_u32 v5, v0, s0
	v_cmp_gt_u64_e32 vcc, s[10:11], v[7:8]
	v_cmp_le_u64_e64 s[0:1], s[10:11], v[7:8]
	v_add3_u32 v2, v4, v2, v3
	v_mul_u32_u24_e32 v3, 0xc0, v5
	v_sub_u32_e32 v50, v0, v3
	s_and_saveexec_b64 s[4:5], s[0:1]
	s_xor_b64 s[0:1], exec, s[4:5]
; %bb.10:
	v_add_u32_e32 v51, 0xc0, v50
	v_add_u32_e32 v52, 0x180, v50
; %bb.11:
	s_or_saveexec_b64 s[4:5], s[0:1]
	v_lshlrev_b64 v[48:49], 4, v[1:2]
                                        ; implicit-def: $vgpr30_vgpr31
                                        ; implicit-def: $vgpr46_vgpr47
                                        ; implicit-def: $vgpr26_vgpr27
                                        ; implicit-def: $vgpr2_vgpr3
                                        ; implicit-def: $vgpr10_vgpr11
                                        ; implicit-def: $vgpr18_vgpr19
                                        ; implicit-def: $vgpr6_vgpr7
                                        ; implicit-def: $vgpr22_vgpr23
                                        ; implicit-def: $vgpr14_vgpr15
                                        ; implicit-def: $vgpr34_vgpr35
                                        ; implicit-def: $vgpr42_vgpr43
                                        ; implicit-def: $vgpr38_vgpr39
	s_xor_b64 exec, exec, s[4:5]
	s_cbranch_execz .LBB0_13
; %bb.12:
	v_mad_u64_u32 v[0:1], s[0:1], s2, v50, 0
	v_add_u32_e32 v52, 0x180, v50
	v_mov_b32_e32 v4, s13
	v_mad_u64_u32 v[1:2], s[0:1], s3, v50, v[1:2]
	v_mad_u64_u32 v[2:3], s[0:1], s2, v52, 0
	v_add_co_u32_e64 v8, s[0:1], s12, v48
	v_addc_co_u32_e64 v9, s[0:1], v4, v49, s[0:1]
	v_mad_u64_u32 v[3:4], s[0:1], s3, v52, v[3:4]
	v_or_b32_e32 v6, 0x300, v50
	v_mad_u64_u32 v[4:5], s[0:1], s2, v6, 0
	v_lshlrev_b64 v[0:1], 4, v[0:1]
	v_add_u32_e32 v51, 0xc0, v50
	v_add_co_u32_e64 v53, s[0:1], v8, v0
	v_addc_co_u32_e64 v54, s[0:1], v9, v1, s[0:1]
	v_lshlrev_b64 v[0:1], 4, v[2:3]
	v_mov_b32_e32 v2, v5
	v_mad_u64_u32 v[2:3], s[0:1], s3, v6, v[2:3]
	v_add_u32_e32 v3, 0x480, v50
	v_mad_u64_u32 v[6:7], s[0:1], s2, v3, 0
	v_add_co_u32_e64 v55, s[0:1], v8, v0
	v_mov_b32_e32 v5, v2
	v_mov_b32_e32 v2, v7
	v_addc_co_u32_e64 v56, s[0:1], v9, v1, s[0:1]
	v_lshlrev_b64 v[0:1], 4, v[4:5]
	v_mad_u64_u32 v[2:3], s[0:1], s3, v3, v[2:3]
	v_or_b32_e32 v5, 0x600, v50
	v_mad_u64_u32 v[3:4], s[0:1], s2, v5, 0
	v_add_co_u32_e64 v57, s[0:1], v8, v0
	v_mov_b32_e32 v7, v2
	v_mov_b32_e32 v2, v4
	v_addc_co_u32_e64 v58, s[0:1], v9, v1, s[0:1]
	v_lshlrev_b64 v[0:1], 4, v[6:7]
	v_mad_u64_u32 v[4:5], s[0:1], s3, v5, v[2:3]
	v_add_u32_e32 v7, 0x780, v50
	v_mad_u64_u32 v[5:6], s[0:1], s2, v7, 0
	v_add_co_u32_e64 v59, s[0:1], v8, v0
	v_mov_b32_e32 v2, v6
	v_addc_co_u32_e64 v60, s[0:1], v9, v1, s[0:1]
	v_lshlrev_b64 v[0:1], 4, v[3:4]
	v_mad_u64_u32 v[2:3], s[0:1], s3, v7, v[2:3]
	v_mad_u64_u32 v[3:4], s[0:1], s2, v51, 0
	v_add_co_u32_e64 v61, s[0:1], v8, v0
	v_mov_b32_e32 v6, v2
	v_mov_b32_e32 v2, v4
	v_addc_co_u32_e64 v62, s[0:1], v9, v1, s[0:1]
	v_lshlrev_b64 v[0:1], 4, v[5:6]
	v_mad_u64_u32 v[4:5], s[0:1], s3, v51, v[2:3]
	v_add_u32_e32 v7, 0x240, v50
	v_mad_u64_u32 v[5:6], s[0:1], s2, v7, 0
	v_add_co_u32_e64 v63, s[0:1], v8, v0
	v_mov_b32_e32 v2, v6
	v_addc_co_u32_e64 v64, s[0:1], v9, v1, s[0:1]
	v_lshlrev_b64 v[0:1], 4, v[3:4]
	v_mad_u64_u32 v[2:3], s[0:1], s3, v7, v[2:3]
	v_add_u32_e32 v7, 0x3c0, v50
	v_mad_u64_u32 v[3:4], s[0:1], s2, v7, 0
	v_add_co_u32_e64 v65, s[0:1], v8, v0
	v_mov_b32_e32 v6, v2
	v_mov_b32_e32 v2, v4
	v_addc_co_u32_e64 v66, s[0:1], v9, v1, s[0:1]
	v_lshlrev_b64 v[0:1], 4, v[5:6]
	v_mad_u64_u32 v[4:5], s[0:1], s3, v7, v[2:3]
	v_add_u32_e32 v7, 0x540, v50
	v_mad_u64_u32 v[5:6], s[0:1], s2, v7, 0
	v_add_co_u32_e64 v67, s[0:1], v8, v0
	v_mov_b32_e32 v2, v6
	v_addc_co_u32_e64 v68, s[0:1], v9, v1, s[0:1]
	v_lshlrev_b64 v[0:1], 4, v[3:4]
	v_mad_u64_u32 v[2:3], s[0:1], s3, v7, v[2:3]
	v_add_u32_e32 v7, 0x6c0, v50
	v_mad_u64_u32 v[3:4], s[0:1], s2, v7, 0
	v_add_co_u32_e64 v69, s[0:1], v8, v0
	v_mov_b32_e32 v6, v2
	v_mov_b32_e32 v2, v4
	v_addc_co_u32_e64 v70, s[0:1], v9, v1, s[0:1]
	v_lshlrev_b64 v[0:1], 4, v[5:6]
	v_mad_u64_u32 v[4:5], s[0:1], s3, v7, v[2:3]
	v_add_u32_e32 v7, 0x840, v50
	v_mad_u64_u32 v[5:6], s[0:1], s2, v7, 0
	v_add_co_u32_e64 v71, s[0:1], v8, v0
	v_mov_b32_e32 v2, v6
	v_addc_co_u32_e64 v72, s[0:1], v9, v1, s[0:1]
	v_lshlrev_b64 v[0:1], 4, v[3:4]
	v_mad_u64_u32 v[2:3], s[0:1], s3, v7, v[2:3]
	v_add_co_u32_e64 v73, s[0:1], v8, v0
	v_mov_b32_e32 v6, v2
	v_addc_co_u32_e64 v74, s[0:1], v9, v1, s[0:1]
	v_lshlrev_b64 v[0:1], 4, v[5:6]
	v_add_co_u32_e64 v75, s[0:1], v8, v0
	v_addc_co_u32_e64 v76, s[0:1], v9, v1, s[0:1]
	global_load_dwordx4 v[36:39], v[53:54], off
	global_load_dwordx4 v[28:31], v[55:56], off
	;; [unrolled: 1-line block ×12, first 2 shown]
.LBB0_13:
	s_or_b64 exec, exec, s[4:5]
	s_waitcnt vmcnt(6)
	v_add_f64 v[53:54], v[26:27], v[42:43]
	v_add_f64 v[63:64], v[24:25], v[40:41]
	v_add_f64 v[65:66], v[40:41], -v[24:25]
	s_mov_b32 s0, 0xe8584caa
	s_mov_b32 s1, 0xbfebb67a
	;; [unrolled: 1-line block ×4, first 2 shown]
	v_add_f64 v[55:56], v[44:45], v[32:33]
	v_fma_f64 v[53:54], v[53:54], -0.5, v[30:31]
	v_add_f64 v[57:58], v[46:47], v[34:35]
	v_add_f64 v[61:62], v[46:47], v[38:39]
	v_add_f64 v[67:68], v[42:43], -v[26:27]
	v_fma_f64 v[63:64], v[63:64], -0.5, v[28:29]
	v_add_f64 v[28:29], v[28:29], v[40:41]
	v_add_f64 v[59:60], v[44:45], v[36:37]
	v_add_f64 v[46:47], v[46:47], -v[34:35]
	v_fma_f64 v[69:70], v[65:66], s[4:5], v[53:54]
	v_fma_f64 v[40:41], v[65:66], s[0:1], v[53:54]
	v_add_f64 v[30:31], v[30:31], v[42:43]
	v_fma_f64 v[36:37], v[55:56], -0.5, v[36:37]
	v_fma_f64 v[38:39], v[57:58], -0.5, v[38:39]
	v_fma_f64 v[42:43], v[67:68], s[0:1], v[63:64]
	v_add_f64 v[55:56], v[34:35], v[61:62]
	v_fma_f64 v[57:58], v[67:68], s[4:5], v[63:64]
	v_mul_f64 v[53:54], v[69:70], s[0:1]
	v_mul_f64 v[34:35], v[40:41], s[0:1]
	v_add_f64 v[44:45], v[44:45], -v[32:33]
	v_add_f64 v[32:33], v[32:33], v[59:60]
	v_add_f64 v[24:25], v[24:25], v[28:29]
	;; [unrolled: 1-line block ×3, first 2 shown]
	v_fma_f64 v[61:62], v[46:47], s[0:1], v[36:37]
	v_mul_f64 v[29:30], v[42:43], s[4:5]
	v_fma_f64 v[42:43], v[42:43], 0.5, v[53:54]
	v_fma_f64 v[46:47], v[46:47], s[4:5], v[36:37]
	v_mul_f64 v[36:37], v[40:41], -0.5
	v_fma_f64 v[40:41], v[57:58], -0.5, v[34:35]
	s_waitcnt vmcnt(0)
	v_add_f64 v[65:66], v[10:11], v[6:7]
	v_add_f64 v[27:28], v[24:25], v[32:33]
	v_add_f64 v[33:34], v[32:33], -v[24:25]
	v_fma_f64 v[24:25], v[44:45], s[4:5], v[38:39]
	v_fma_f64 v[53:54], v[69:70], 0.5, v[29:30]
	v_add_f64 v[29:30], v[61:62], v[42:43]
	v_fma_f64 v[63:64], v[44:45], s[0:1], v[38:39]
	v_fma_f64 v[57:58], v[57:58], s[4:5], v[36:37]
	v_add_f64 v[31:32], v[46:47], v[40:41]
	v_add_f64 v[35:36], v[61:62], -v[42:43]
	v_add_f64 v[37:38], v[46:47], -v[40:41]
	v_add_f64 v[39:40], v[59:60], v[55:56]
	v_add_f64 v[45:46], v[55:56], -v[59:60]
	v_add_f64 v[59:60], v[8:9], v[4:5]
	v_fma_f64 v[61:62], v[65:66], -0.5, v[14:15]
	v_add_f64 v[65:66], v[8:9], -v[4:5]
	v_add_f64 v[43:44], v[63:64], v[57:58]
	v_add_f64 v[55:56], v[63:64], -v[57:58]
	v_add_f64 v[63:64], v[16:17], v[20:21]
	;; [unrolled: 2-line block ×3, first 2 shown]
	v_fma_f64 v[59:60], v[59:60], -0.5, v[12:13]
	v_add_f64 v[41:42], v[24:25], v[53:54]
	v_fma_f64 v[69:70], v[65:66], s[4:5], v[61:62]
	v_fma_f64 v[12:13], v[65:66], s[0:1], v[61:62]
	v_add_f64 v[53:54], v[24:25], -v[53:54]
	v_add_f64 v[24:25], v[0:1], v[20:21]
	v_add_f64 v[57:58], v[2:3], v[22:23]
	v_add_f64 v[71:72], v[18:19], v[22:23]
	v_add_f64 v[22:23], v[22:23], -v[18:19]
	v_fma_f64 v[0:1], v[63:64], -0.5, v[0:1]
	v_fma_f64 v[61:62], v[67:68], s[0:1], v[59:60]
	v_mul_f64 v[63:64], v[69:70], s[0:1]
	v_add_f64 v[10:11], v[10:11], v[14:15]
	v_add_f64 v[4:5], v[4:5], v[8:9]
	v_fma_f64 v[8:9], v[67:68], s[4:5], v[59:60]
	v_mul_f64 v[14:15], v[12:13], s[0:1]
	v_add_f64 v[20:21], v[20:21], -v[16:17]
	v_add_f64 v[16:17], v[16:17], v[24:25]
	v_add_f64 v[18:19], v[18:19], v[57:58]
	v_fma_f64 v[24:25], v[22:23], s[0:1], v[0:1]
	v_fma_f64 v[57:58], v[61:62], 0.5, v[63:64]
	v_mul_f64 v[59:60], v[61:62], s[4:5]
	v_fma_f64 v[61:62], v[71:72], -0.5, v[2:3]
	v_add_f64 v[63:64], v[6:7], v[10:11]
	v_mul_f64 v[6:7], v[12:13], -0.5
	v_fma_f64 v[10:11], v[22:23], s[4:5], v[0:1]
	v_fma_f64 v[12:13], v[8:9], -0.5, v[14:15]
	v_add_f64 v[0:1], v[16:17], v[4:5]
	v_add_f64 v[2:3], v[24:25], v[57:58]
	v_fma_f64 v[22:23], v[69:70], 0.5, v[59:60]
	v_fma_f64 v[59:60], v[20:21], s[4:5], v[61:62]
	v_fma_f64 v[61:62], v[20:21], s[0:1], v[61:62]
	;; [unrolled: 1-line block ×3, first 2 shown]
	v_add_f64 v[6:7], v[16:17], -v[4:5]
	v_add_f64 v[4:5], v[10:11], v[12:13]
	v_add_f64 v[8:9], v[24:25], -v[57:58]
	v_add_f64 v[10:11], v[10:11], -v[12:13]
	v_mul_u32_u24_e32 v24, 6, v50
	v_lshl_add_u32 v26, v24, 3, 0
	v_mul_i32_i24_e32 v24, 6, v51
	ds_write_b128 v26, v[27:30]
	ds_write_b128 v26, v[31:34] offset:16
	ds_write_b128 v26, v[35:38] offset:32
	v_lshl_add_u32 v27, v24, 3, 0
	s_movk_i32 s6, 0xffd8
	ds_write_b128 v27, v[0:3]
	ds_write_b128 v27, v[4:7] offset:16
	ds_write_b128 v27, v[8:11] offset:32
	v_mad_i32_i24 v8, v50, s6, v26
	v_mad_i32_i24 v9, v51, s6, v27
	s_movk_i32 s6, 0xab
	v_add_f64 v[12:13], v[18:19], v[63:64]
	v_add_f64 v[14:15], v[59:60], v[22:23]
	v_mul_lo_u16_sdwa v10, v50, s6 dst_sel:DWORD dst_unused:UNUSED_PAD src0_sel:BYTE_0 src1_sel:DWORD
	v_add_f64 v[18:19], v[18:19], -v[63:64]
	v_add_f64 v[16:17], v[61:62], v[65:66]
	v_lshrrev_b16_e32 v47, 10, v10
	v_add_f64 v[20:21], v[59:60], -v[22:23]
	v_add_f64 v[22:23], v[61:62], -v[65:66]
	v_mul_lo_u16_e32 v10, 6, v47
	v_sub_u16_e32 v79, v50, v10
	v_mov_b32_e32 v10, 5
	v_lshl_add_u32 v28, v52, 3, 0
	v_mul_u32_u24_sdwa v10, v79, v10 dst_sel:DWORD dst_unused:UNUSED_PAD src0_sel:BYTE_0 src1_sel:DWORD
	s_waitcnt lgkmcnt(0)
	s_barrier
	ds_read2st64_b64 v[2:5], v8 offset1:9
	ds_read2st64_b64 v[29:32], v8 offset0:12 offset1:15
	ds_read2st64_b64 v[33:36], v8 offset0:18 offset1:21
	;; [unrolled: 1-line block ×3, first 2 shown]
	ds_read_b64 v[6:7], v28
	ds_read_b64 v[0:1], v9
	ds_read2st64_b64 v[61:64], v8 offset0:30 offset1:33
	s_waitcnt lgkmcnt(0)
	s_barrier
	ds_write_b128 v26, v[39:42]
	ds_write_b128 v26, v[43:46] offset:16
	ds_write_b128 v26, v[53:56] offset:32
	ds_write_b128 v27, v[12:15]
	ds_write_b128 v27, v[16:19] offset:16
	ds_write_b128 v27, v[20:23] offset:32
	v_lshlrev_b32_e32 v45, 4, v10
	s_waitcnt lgkmcnt(0)
	s_barrier
	global_load_dwordx4 v[10:13], v45, s[8:9] offset:16
	s_mov_b32 s6, 0xaaab
	v_mul_u32_u24_sdwa v14, v51, s6 dst_sel:DWORD dst_unused:UNUSED_PAD src0_sel:WORD_0 src1_sel:DWORD
	v_lshrrev_b32_e32 v80, 18, v14
	v_mul_lo_u16_e32 v14, 6, v80
	v_sub_u16_e32 v81, v51, v14
	v_mul_u32_u24_e32 v14, 5, v81
	v_lshlrev_b32_e32 v75, 4, v14
	global_load_dwordx4 v[14:17], v75, s[8:9] offset:16
	global_load_dwordx4 v[18:21], v45, s[8:9] offset:32
	global_load_dwordx4 v[22:25], v75, s[8:9] offset:32
	global_load_dwordx4 v[37:40], v45, s[8:9] offset:48
	global_load_dwordx4 v[41:44], v75, s[8:9] offset:48
	ds_read2st64_b64 v[53:56], v8 offset0:12 offset1:15
	global_load_dwordx4 v[65:68], v45, s[8:9] offset:64
	global_load_dwordx4 v[69:72], v45, s[8:9]
	v_mov_b32_e32 v82, 3
	v_mul_u32_u24_e32 v47, 0x120, v47
	s_waitcnt vmcnt(7) lgkmcnt(0)
	v_mul_f64 v[45:46], v[53:54], v[12:13]
	v_mul_f64 v[12:13], v[29:30], v[12:13]
	v_fma_f64 v[45:46], v[29:30], v[10:11], v[45:46]
	v_fma_f64 v[53:54], v[53:54], v[10:11], -v[12:13]
	global_load_dwordx4 v[10:13], v75, s[8:9] offset:64
	s_waitcnt vmcnt(7)
	v_mul_f64 v[29:30], v[55:56], v[16:17]
	v_mul_f64 v[16:17], v[31:32], v[16:17]
	v_fma_f64 v[73:74], v[31:32], v[14:15], v[29:30]
	global_load_dwordx4 v[29:32], v75, s[8:9]
	v_fma_f64 v[55:56], v[55:56], v[14:15], -v[16:17]
	ds_read2st64_b64 v[14:17], v8 offset0:18 offset1:21
	s_waitcnt vmcnt(7) lgkmcnt(0)
	v_mul_f64 v[75:76], v[14:15], v[20:21]
	v_mul_f64 v[20:21], v[33:34], v[20:21]
	v_fma_f64 v[33:34], v[33:34], v[18:19], v[75:76]
	v_fma_f64 v[75:76], v[14:15], v[18:19], -v[20:21]
	s_waitcnt vmcnt(6)
	v_mul_f64 v[14:15], v[16:17], v[24:25]
	v_mul_f64 v[24:25], v[35:36], v[24:25]
	ds_read2st64_b64 v[18:21], v8 offset0:24 offset1:27
	v_fma_f64 v[35:36], v[35:36], v[22:23], v[14:15]
	v_fma_f64 v[22:23], v[16:17], v[22:23], -v[24:25]
	s_waitcnt vmcnt(5) lgkmcnt(0)
	v_mul_f64 v[14:15], v[18:19], v[39:40]
	v_mul_f64 v[16:17], v[57:58], v[39:40]
	s_waitcnt vmcnt(4)
	v_mul_f64 v[24:25], v[20:21], v[43:44]
	v_fma_f64 v[39:40], v[57:58], v[37:38], v[14:15]
	v_fma_f64 v[18:19], v[18:19], v[37:38], -v[16:17]
	v_mul_f64 v[37:38], v[59:60], v[43:44]
	s_waitcnt vmcnt(3)
	v_mul_f64 v[43:44], v[61:62], v[67:68]
	ds_read2st64_b64 v[14:17], v8 offset0:30 offset1:33
	v_fma_f64 v[24:25], v[59:60], v[41:42], v[24:25]
	ds_read_b64 v[59:60], v9
	s_waitcnt lgkmcnt(1)
	v_mul_f64 v[57:58], v[14:15], v[67:68]
	v_fma_f64 v[37:38], v[20:21], v[41:42], -v[37:38]
	v_fma_f64 v[14:15], v[14:15], v[65:66], -v[43:44]
	s_waitcnt vmcnt(2)
	v_mul_f64 v[20:21], v[6:7], v[71:72]
	ds_read_b64 v[41:42], v28
	v_add_f64 v[67:68], v[45:46], v[39:40]
	v_fma_f64 v[43:44], v[61:62], v[65:66], v[57:58]
	s_waitcnt lgkmcnt(0)
	v_mul_f64 v[61:62], v[41:42], v[71:72]
	v_fma_f64 v[20:21], v[41:42], v[69:70], -v[20:21]
	v_add_f64 v[41:42], v[75:76], v[14:15]
	v_fma_f64 v[6:7], v[6:7], v[69:70], v[61:62]
	v_add_f64 v[61:62], v[33:34], -v[43:44]
	v_add_f64 v[69:70], v[75:76], -v[14:15]
	v_fma_f64 v[41:42], v[41:42], -0.5, v[20:21]
	s_waitcnt vmcnt(1)
	v_mul_f64 v[57:58], v[16:17], v[12:13]
	v_mul_f64 v[12:13], v[63:64], v[12:13]
	v_fma_f64 v[71:72], v[61:62], s[4:5], v[41:42]
	v_fma_f64 v[41:42], v[61:62], s[0:1], v[41:42]
	v_lshlrev_b32_sdwa v61, v82, v79 dst_sel:DWORD dst_unused:UNUSED_PAD src0_sel:DWORD src1_sel:BYTE_0
	v_add3_u32 v47, 0, v47, v61
	v_mul_u32_u24_e32 v79, 0x120, v80
	v_lshlrev_b32_e32 v80, 3, v81
	v_fma_f64 v[57:58], v[63:64], v[10:11], v[57:58]
	v_fma_f64 v[63:64], v[16:17], v[10:11], -v[12:13]
	v_add_f64 v[16:17], v[33:34], v[43:44]
	ds_read2st64_b64 v[10:13], v8 offset1:9
	s_waitcnt vmcnt(0) lgkmcnt(0)
	s_barrier
	v_add3_u32 v79, 0, v79, v80
	v_mul_f64 v[65:66], v[12:13], v[31:32]
	v_mul_f64 v[31:32], v[4:5], v[31:32]
	v_fma_f64 v[16:17], v[16:17], -0.5, v[6:7]
	v_add_f64 v[6:7], v[6:7], v[33:34]
	v_fma_f64 v[4:5], v[4:5], v[29:30], v[65:66]
	v_fma_f64 v[29:30], v[12:13], v[29:30], -v[31:32]
	v_add_f64 v[12:13], v[53:54], v[18:19]
	v_fma_f64 v[31:32], v[67:68], -0.5, v[2:3]
	v_add_f64 v[2:3], v[2:3], v[45:46]
	v_fma_f64 v[33:34], v[69:70], s[0:1], v[16:17]
	v_mul_f64 v[65:66], v[71:72], s[0:1]
	v_add_f64 v[67:68], v[53:54], -v[18:19]
	v_add_f64 v[6:7], v[6:7], v[43:44]
	v_fma_f64 v[77:78], v[12:13], -0.5, v[10:11]
	v_add_f64 v[10:11], v[10:11], v[53:54]
	v_add_f64 v[2:3], v[2:3], v[39:40]
	v_fma_f64 v[53:54], v[69:70], s[4:5], v[16:17]
	v_fma_f64 v[12:13], v[33:34], 0.5, v[65:66]
	v_fma_f64 v[43:44], v[67:68], s[0:1], v[31:32]
	v_mul_f64 v[16:17], v[41:42], s[0:1]
	v_fma_f64 v[31:32], v[67:68], s[4:5], v[31:32]
	v_add_f64 v[67:68], v[22:23], v[63:64]
	v_add_f64 v[69:70], v[35:36], v[57:58]
	;; [unrolled: 1-line block ×3, first 2 shown]
	v_add_f64 v[2:3], v[2:3], -v[6:7]
	v_add_f64 v[39:40], v[45:46], -v[39:40]
	v_add_f64 v[65:66], v[43:44], v[12:13]
	v_fma_f64 v[16:17], v[53:54], -0.5, v[16:17]
	v_add_f64 v[12:13], v[43:44], -v[12:13]
	v_fma_f64 v[67:68], v[67:68], -0.5, v[29:30]
	v_fma_f64 v[43:44], v[69:70], -0.5, v[4:5]
	v_add_f64 v[4:5], v[4:5], v[35:36]
	v_add_f64 v[69:70], v[55:56], -v[37:38]
	v_mul_f64 v[41:42], v[41:42], -0.5
	ds_write2_b64 v47, v[61:62], v[65:66] offset1:6
	v_add_f64 v[61:62], v[73:74], v[24:25]
	v_add_f64 v[65:66], v[35:36], -v[57:58]
	v_add_f64 v[6:7], v[31:32], v[16:17]
	v_add_f64 v[16:17], v[31:32], -v[16:17]
	v_add_f64 v[4:5], v[4:5], v[57:58]
	ds_write2_b64 v47, v[6:7], v[2:3] offset0:12 offset1:18
	ds_write2_b64 v47, v[12:13], v[16:17] offset0:24 offset1:30
	v_fma_f64 v[35:36], v[61:62], -0.5, v[0:1]
	v_add_f64 v[61:62], v[22:23], -v[63:64]
	v_fma_f64 v[31:32], v[65:66], s[4:5], v[67:68]
	v_fma_f64 v[65:66], v[65:66], s[0:1], v[67:68]
	v_add_f64 v[0:1], v[0:1], v[73:74]
	v_add_f64 v[12:13], v[20:21], v[75:76]
	v_mul_f64 v[20:21], v[71:72], 0.5
	v_add_f64 v[71:72], v[55:56], v[37:38]
	v_fma_f64 v[67:68], v[69:70], s[0:1], v[35:36]
	v_fma_f64 v[57:58], v[61:62], s[0:1], v[43:44]
	;; [unrolled: 1-line block ×3, first 2 shown]
	v_mul_f64 v[69:70], v[31:32], s[0:1]
	v_fma_f64 v[43:44], v[61:62], s[4:5], v[43:44]
	v_mul_f64 v[61:62], v[65:66], s[0:1]
	v_add_f64 v[0:1], v[0:1], v[24:25]
	v_add_f64 v[24:25], v[73:74], -v[24:25]
	v_add_f64 v[55:56], v[59:60], v[55:56]
	v_add_f64 v[22:23], v[29:30], v[22:23]
	v_fma_f64 v[29:30], v[71:72], -0.5, v[59:60]
	v_fma_f64 v[69:70], v[57:58], 0.5, v[69:70]
	v_mul_f64 v[31:32], v[31:32], 0.5
	v_fma_f64 v[61:62], v[43:44], -0.5, v[61:62]
	v_add_f64 v[2:3], v[0:1], v[4:5]
	v_add_f64 v[0:1], v[0:1], -v[4:5]
	v_mul_f64 v[59:60], v[65:66], -0.5
	v_add_f64 v[45:46], v[10:11], v[18:19]
	v_fma_f64 v[33:34], v[33:34], s[4:5], v[20:21]
	v_add_f64 v[6:7], v[67:68], v[69:70]
	v_add_f64 v[16:17], v[67:68], -v[69:70]
	v_add_f64 v[4:5], v[35:36], v[61:62]
	v_add_f64 v[35:36], v[35:36], -v[61:62]
	ds_write2_b64 v79, v[2:3], v[6:7] offset1:6
	ds_write2_b64 v79, v[4:5], v[0:1] offset0:12 offset1:18
	v_add_f64 v[61:62], v[12:13], v[14:15]
	ds_write2_b64 v79, v[16:17], v[35:36] offset0:24 offset1:30
	v_fma_f64 v[35:36], v[39:40], s[4:5], v[77:78]
	v_fma_f64 v[39:40], v[39:40], s[0:1], v[77:78]
	;; [unrolled: 1-line block ×3, first 2 shown]
	v_add_f64 v[37:38], v[55:56], v[37:38]
	v_add_f64 v[22:23], v[22:23], v[63:64]
	v_fma_f64 v[53:54], v[24:25], s[4:5], v[29:30]
	v_fma_f64 v[31:32], v[57:58], s[4:5], v[31:32]
	;; [unrolled: 1-line block ×4, first 2 shown]
	v_add_f64 v[75:76], v[45:46], v[61:62]
	v_add_f64 v[73:74], v[35:36], v[33:34]
	v_add_f64 v[45:46], v[45:46], -v[61:62]
	v_add_f64 v[43:44], v[39:40], v[41:42]
	v_add_f64 v[33:34], v[35:36], -v[33:34]
	v_add_f64 v[35:36], v[39:40], -v[41:42]
	v_add_f64 v[39:40], v[37:38], v[22:23]
	v_add_f64 v[22:23], v[37:38], -v[22:23]
	v_add_f64 v[37:38], v[53:54], v[31:32]
	v_add_f64 v[41:42], v[24:25], v[29:30]
	v_add_f64 v[31:32], v[53:54], -v[31:32]
	v_add_f64 v[24:25], v[24:25], -v[29:30]
	s_waitcnt lgkmcnt(0)
	s_barrier
	ds_read_b64 v[67:68], v9
	ds_read_b64 v[69:70], v28
	ds_read2st64_b64 v[0:3], v8 offset1:9
	ds_read2st64_b64 v[4:7], v8 offset0:18 offset1:21
	ds_read2st64_b64 v[10:13], v8 offset0:24 offset1:27
	;; [unrolled: 1-line block ×4, first 2 shown]
	s_waitcnt lgkmcnt(0)
	s_barrier
	ds_write2_b64 v47, v[75:76], v[73:74] offset1:6
	ds_write2_b64 v47, v[43:44], v[45:46] offset0:12 offset1:18
	ds_write2_b64 v47, v[33:34], v[35:36] offset0:24 offset1:30
	ds_write2_b64 v79, v[39:40], v[37:38] offset1:6
	ds_write2_b64 v79, v[41:42], v[22:23] offset0:12 offset1:18
	ds_write2_b64 v79, v[31:32], v[24:25] offset0:24 offset1:30
	v_mov_b32_e32 v22, 57
	v_mul_lo_u16_sdwa v22, v50, v22 dst_sel:DWORD dst_unused:UNUSED_PAD src0_sel:BYTE_0 src1_sel:DWORD
	v_lshrrev_b16_e32 v47, 11, v22
	v_mul_lo_u16_e32 v22, 36, v47
	v_sub_u16_e32 v73, v50, v22
	v_mul_u32_u24_sdwa v22, v73, v82 dst_sel:DWORD dst_unused:UNUSED_PAD src0_sel:BYTE_0 src1_sel:DWORD
	v_lshlrev_b32_e32 v57, 4, v22
	s_waitcnt lgkmcnt(0)
	s_barrier
	global_load_dwordx4 v[22:25], v57, s[8:9] offset:496
	s_mov_b32 s0, 0xe38f
	v_mul_u32_u24_sdwa v74, v51, s0 dst_sel:DWORD dst_unused:UNUSED_PAD src0_sel:WORD_0 src1_sel:DWORD
	v_lshrrev_b32_e32 v75, 21, v74
	v_mul_lo_u16_e32 v29, 36, v75
	v_sub_u16_e32 v76, v51, v29
	v_mul_u32_u24_e32 v29, 3, v76
	v_lshlrev_b32_e32 v61, 4, v29
	global_load_dwordx4 v[29:32], v61, s[8:9] offset:496
	global_load_dwordx4 v[33:36], v61, s[8:9] offset:480
	v_mul_u32_u24_sdwa v77, v52, s0 dst_sel:DWORD dst_unused:UNUSED_PAD src0_sel:WORD_0 src1_sel:DWORD
	v_lshrrev_b32_e32 v78, 21, v77
	v_mul_lo_u16_e32 v37, 36, v78
	v_sub_u16_e32 v79, v52, v37
	v_mul_u32_u24_e32 v37, 3, v79
	v_lshlrev_b32_e32 v71, 4, v37
	global_load_dwordx4 v[37:40], v71, s[8:9] offset:480
	ds_read2st64_b64 v[41:44], v8 offset0:18 offset1:21
	global_load_dwordx4 v[53:56], v57, s[8:9] offset:480
	s_movk_i32 s0, 0x90
	v_cmp_gt_u32_e64 s[0:1], s0, v50
	v_lshrrev_b32_e32 v77, 23, v77
	s_waitcnt vmcnt(4) lgkmcnt(0)
	v_mul_f64 v[45:46], v[41:42], v[24:25]
	v_mul_f64 v[24:25], v[4:5], v[24:25]
	v_fma_f64 v[45:46], v[4:5], v[22:23], v[45:46]
	v_fma_f64 v[41:42], v[41:42], v[22:23], -v[24:25]
	global_load_dwordx4 v[22:25], v61, s[8:9] offset:512
	s_waitcnt vmcnt(4)
	v_mul_f64 v[4:5], v[43:44], v[31:32]
	global_load_dwordx4 v[57:60], v57, s[8:9] offset:512
	v_add_f64 v[45:46], v[0:1], -v[45:46]
	global_load_dwordx4 v[61:64], v71, s[8:9] offset:496
	v_fma_f64 v[65:66], v[6:7], v[29:30], v[4:5]
	v_mul_f64 v[4:5], v[6:7], v[31:32]
	s_waitcnt vmcnt(5)
	v_mul_f64 v[31:32], v[14:15], v[35:36]
	v_fma_f64 v[0:1], v[0:1], 2.0, -v[45:46]
	v_fma_f64 v[43:44], v[43:44], v[29:30], -v[4:5]
	ds_read2st64_b64 v[4:7], v8 offset0:12 offset1:15
	s_waitcnt lgkmcnt(0)
	v_mul_f64 v[29:30], v[4:5], v[35:36]
	v_fma_f64 v[35:36], v[14:15], v[33:34], v[29:30]
	v_fma_f64 v[33:34], v[4:5], v[33:34], -v[31:32]
	global_load_dwordx4 v[29:32], v71, s[8:9] offset:512
	s_waitcnt vmcnt(5)
	v_mul_f64 v[4:5], v[6:7], v[39:40]
	v_fma_f64 v[71:72], v[16:17], v[37:38], v[4:5]
	v_mul_f64 v[4:5], v[16:17], v[39:40]
	v_fma_f64 v[16:17], v[6:7], v[37:38], -v[4:5]
	ds_read2st64_b64 v[4:7], v8 offset0:24 offset1:27
	s_waitcnt vmcnt(2) lgkmcnt(0)
	v_mul_f64 v[14:15], v[6:7], v[59:60]
	v_mul_f64 v[37:38], v[12:13], v[59:60]
	s_waitcnt vmcnt(1)
	v_mul_f64 v[39:40], v[4:5], v[63:64]
	v_fma_f64 v[59:60], v[12:13], v[57:58], v[14:15]
	ds_read2st64_b64 v[12:15], v8 offset1:9
	v_fma_f64 v[6:7], v[6:7], v[57:58], -v[37:38]
	v_fma_f64 v[37:38], v[10:11], v[61:62], v[39:40]
	s_waitcnt lgkmcnt(0)
	v_mul_f64 v[39:40], v[14:15], v[55:56]
	v_mul_f64 v[10:11], v[10:11], v[63:64]
	;; [unrolled: 1-line block ×3, first 2 shown]
	v_add_f64 v[41:42], v[12:13], -v[41:42]
	v_add_f64 v[37:38], v[69:70], -v[37:38]
	v_fma_f64 v[39:40], v[2:3], v[53:54], v[39:40]
	v_fma_f64 v[10:11], v[4:5], v[61:62], -v[10:11]
	ds_read2st64_b64 v[2:5], v8 offset0:30 offset1:33
	v_fma_f64 v[14:15], v[14:15], v[53:54], -v[55:56]
	v_fma_f64 v[12:13], v[12:13], 2.0, -v[41:42]
	s_waitcnt lgkmcnt(0)
	v_mul_f64 v[53:54], v[2:3], v[24:25]
	v_add_f64 v[57:58], v[39:40], -v[59:60]
	v_mul_f64 v[24:25], v[18:19], v[24:25]
	s_waitcnt vmcnt(0)
	v_mul_f64 v[55:56], v[4:5], v[31:32]
	v_mul_f64 v[31:32], v[20:21], v[31:32]
	v_add_f64 v[6:7], v[14:15], -v[6:7]
	v_fma_f64 v[59:60], v[69:70], 2.0, -v[37:38]
	v_fma_f64 v[18:19], v[18:19], v[22:23], v[53:54]
	v_fma_f64 v[39:40], v[39:40], 2.0, -v[57:58]
	v_fma_f64 v[2:3], v[2:3], v[22:23], -v[24:25]
	v_fma_f64 v[20:21], v[20:21], v[29:30], v[55:56]
	v_fma_f64 v[4:5], v[4:5], v[29:30], -v[31:32]
	v_add_f64 v[29:30], v[67:68], -v[65:66]
	v_add_f64 v[24:25], v[45:46], v[6:7]
	v_lshlrev_b32_sdwa v31, v82, v73 dst_sel:DWORD dst_unused:UNUSED_PAD src0_sel:DWORD src1_sel:BYTE_0
	v_add_f64 v[18:19], v[35:36], -v[18:19]
	v_add_f64 v[22:23], v[0:1], -v[39:40]
	v_mul_u32_u24_e32 v32, 0x480, v47
	v_add_f64 v[2:3], v[33:34], -v[2:3]
	v_add3_u32 v47, 0, v32, v31
	v_fma_f64 v[53:54], v[67:68], 2.0, -v[29:30]
	v_fma_f64 v[31:32], v[45:46], 2.0, -v[24:25]
	v_add_f64 v[4:5], v[16:17], -v[4:5]
	v_fma_f64 v[35:36], v[35:36], 2.0, -v[18:19]
	v_fma_f64 v[0:1], v[0:1], 2.0, -v[22:23]
	;; [unrolled: 1-line block ×3, first 2 shown]
	v_add_f64 v[55:56], v[29:30], v[2:3]
	ds_read_b64 v[39:40], v9
	ds_read_b64 v[45:46], v28
	s_waitcnt lgkmcnt(0)
	s_barrier
	v_add_f64 v[35:36], v[53:54], -v[35:36]
	ds_write2_b64 v47, v[0:1], v[31:32] offset1:36
	ds_write2_b64 v47, v[22:23], v[24:25] offset0:72 offset1:108
	v_add_f64 v[24:25], v[37:38], v[4:5]
	v_add_f64 v[31:32], v[41:42], -v[57:58]
	v_add_f64 v[20:21], v[71:72], -v[20:21]
	v_fma_f64 v[14:15], v[29:30], 2.0, -v[55:56]
	v_add_f64 v[29:30], v[12:13], -v[6:7]
	v_lshlrev_b32_e32 v6, 3, v76
	v_fma_f64 v[0:1], v[53:54], 2.0, -v[35:36]
	v_mul_u32_u24_e32 v53, 0x480, v75
	v_add3_u32 v57, 0, v53, v6
	v_fma_f64 v[6:7], v[37:38], 2.0, -v[24:25]
	v_fma_f64 v[37:38], v[41:42], 2.0, -v[31:32]
	v_add_f64 v[41:42], v[39:40], -v[43:44]
	v_add_f64 v[43:44], v[45:46], -v[10:11]
	v_fma_f64 v[61:62], v[71:72], 2.0, -v[20:21]
	ds_write2_b64 v57, v[0:1], v[14:15] offset1:36
	ds_write2_b64 v57, v[35:36], v[55:56] offset0:72 offset1:108
	v_fma_f64 v[35:36], v[12:13], 2.0, -v[29:30]
	v_mul_u32_u24_e32 v12, 0x480, v78
	v_lshlrev_b32_e32 v10, 3, v79
	v_add3_u32 v55, 0, v12, v10
	v_fma_f64 v[10:11], v[33:34], 2.0, -v[2:3]
	v_fma_f64 v[33:34], v[39:40], 2.0, -v[41:42]
	;; [unrolled: 1-line block ×4, first 2 shown]
	v_add_f64 v[22:23], v[59:60], -v[61:62]
	v_add_f64 v[18:19], v[41:42], -v[18:19]
	;; [unrolled: 1-line block ×5, first 2 shown]
	v_fma_f64 v[0:1], v[59:60], 2.0, -v[22:23]
	v_fma_f64 v[41:42], v[41:42], 2.0, -v[18:19]
	;; [unrolled: 1-line block ×3, first 2 shown]
	ds_write2_b64 v55, v[0:1], v[6:7] offset1:36
	ds_write2_b64 v55, v[22:23], v[24:25] offset0:72 offset1:108
	v_fma_f64 v[33:34], v[33:34], 2.0, -v[45:46]
	v_fma_f64 v[39:40], v[39:40], 2.0, -v[53:54]
	s_waitcnt lgkmcnt(0)
	s_barrier
	ds_read2st64_b64 v[0:3], v8 offset1:9
	ds_read2st64_b64 v[4:7], v8 offset0:18 offset1:21
	ds_read_b64 v[69:70], v9
	ds_read_b64 v[71:72], v28
	ds_read2st64_b64 v[10:13], v8 offset0:24 offset1:27
	ds_read2st64_b64 v[14:17], v8 offset0:12 offset1:15
	;; [unrolled: 1-line block ×3, first 2 shown]
	s_waitcnt lgkmcnt(0)
	s_barrier
	ds_write2_b64 v47, v[35:36], v[37:38] offset1:36
	ds_write2_b64 v47, v[29:30], v[31:32] offset0:72 offset1:108
	ds_write2_b64 v57, v[33:34], v[41:42] offset1:36
	ds_write2_b64 v57, v[45:46], v[18:19] offset0:72 offset1:108
	;; [unrolled: 2-line block ×3, first 2 shown]
	v_add_u32_e32 v18, 0xffffff70, v50
	v_cndmask_b32_e64 v47, v18, v50, s[0:1]
	v_mul_i32_i24_e32 v20, 3, v47
	v_mov_b32_e32 v21, 0
	v_lshlrev_b64 v[18:19], 4, v[20:21]
	v_mov_b32_e32 v20, s9
	v_add_co_u32_e64 v18, s[0:1], s8, v18
	v_addc_co_u32_e64 v19, s[0:1], v20, v19, s[0:1]
	s_waitcnt lgkmcnt(0)
	s_barrier
	global_load_dwordx4 v[29:32], v[18:19], off offset:2224
	v_lshrrev_b32_e32 v20, 23, v74
	v_mul_lo_u16_e32 v33, 0x90, v20
	v_sub_u16_e32 v78, v51, v33
	v_mul_u32_u24_e32 v33, 3, v78
	v_lshlrev_b32_e32 v73, 4, v33
	global_load_dwordx4 v[33:36], v73, s[8:9] offset:2224
	global_load_dwordx4 v[37:40], v73, s[8:9] offset:2208
	v_mul_lo_u16_e32 v41, 0x90, v77
	v_sub_u16_e32 v79, v52, v41
	v_mul_u32_u24_e32 v41, 3, v79
	v_lshlrev_b32_e32 v75, 4, v41
	global_load_dwordx4 v[41:44], v75, s[8:9] offset:2208
	global_load_dwordx4 v[53:56], v[18:19], off offset:2240
	ds_read2st64_b64 v[57:60], v8 offset0:18 offset1:21
	global_load_dwordx4 v[61:64], v75, s[8:9] offset:2224
	global_load_dwordx4 v[65:68], v[18:19], off offset:2208
	s_movk_i32 s0, 0x8f
	v_cmp_lt_u32_e64 s[0:1], s0, v50
	v_mul_u32_u24_e32 v20, 0x1200, v20
	s_waitcnt vmcnt(6) lgkmcnt(0)
	v_mul_f64 v[18:19], v[57:58], v[31:32]
	v_mul_f64 v[31:32], v[4:5], v[31:32]
	v_fma_f64 v[45:46], v[4:5], v[29:30], v[18:19]
	s_waitcnt vmcnt(5)
	v_mul_f64 v[4:5], v[59:60], v[35:36]
	v_fma_f64 v[57:58], v[57:58], v[29:30], -v[31:32]
	global_load_dwordx4 v[29:32], v73, s[8:9] offset:2240
	v_mul_f64 v[18:19], v[6:7], v[35:36]
	v_add_f64 v[45:46], v[0:1], -v[45:46]
	v_fma_f64 v[73:74], v[6:7], v[33:34], v[4:5]
	global_load_dwordx4 v[4:7], v75, s[8:9] offset:2240
	v_fma_f64 v[59:60], v[59:60], v[33:34], -v[18:19]
	ds_read2st64_b64 v[33:36], v8 offset0:12 offset1:15
	v_fma_f64 v[0:1], v[0:1], 2.0, -v[45:46]
	s_waitcnt vmcnt(6) lgkmcnt(0)
	v_mul_f64 v[18:19], v[33:34], v[39:40]
	v_mul_f64 v[39:40], v[14:15], v[39:40]
	v_fma_f64 v[75:76], v[14:15], v[37:38], v[18:19]
	s_waitcnt vmcnt(5)
	v_mul_f64 v[14:15], v[35:36], v[43:44]
	v_mul_f64 v[18:19], v[16:17], v[43:44]
	v_fma_f64 v[33:34], v[33:34], v[37:38], -v[39:40]
	s_waitcnt vmcnt(4)
	v_mul_f64 v[39:40], v[12:13], v[55:56]
	v_fma_f64 v[37:38], v[16:17], v[41:42], v[14:15]
	ds_read2st64_b64 v[14:17], v8 offset0:24 offset1:27
	v_fma_f64 v[35:36], v[35:36], v[41:42], -v[18:19]
	s_waitcnt lgkmcnt(0)
	v_mul_f64 v[18:19], v[16:17], v[55:56]
	v_fma_f64 v[39:40], v[16:17], v[53:54], -v[39:40]
	v_fma_f64 v[41:42], v[12:13], v[53:54], v[18:19]
	s_waitcnt vmcnt(3)
	v_mul_f64 v[12:13], v[14:15], v[63:64]
	ds_read2st64_b64 v[16:19], v8 offset1:9
	s_waitcnt vmcnt(2) lgkmcnt(0)
	v_mul_f64 v[43:44], v[18:19], v[67:68]
	v_add_f64 v[57:58], v[16:17], -v[57:58]
	v_fma_f64 v[53:54], v[10:11], v[61:62], v[12:13]
	v_mul_f64 v[10:11], v[10:11], v[63:64]
	v_fma_f64 v[43:44], v[2:3], v[65:66], v[43:44]
	v_mul_f64 v[2:3], v[2:3], v[67:68]
	v_add_f64 v[53:54], v[71:72], -v[53:54]
	v_fma_f64 v[14:15], v[14:15], v[61:62], -v[10:11]
	ds_read2st64_b64 v[10:13], v8 offset0:30 offset1:33
	v_fma_f64 v[16:17], v[16:17], 2.0, -v[57:58]
	v_add_f64 v[41:42], v[43:44], -v[41:42]
	v_fma_f64 v[2:3], v[18:19], v[65:66], -v[2:3]
	v_fma_f64 v[43:44], v[43:44], 2.0, -v[41:42]
	v_add_f64 v[39:40], v[2:3], -v[39:40]
	v_add_f64 v[41:42], v[57:58], -v[41:42]
	s_waitcnt vmcnt(1) lgkmcnt(0)
	v_mul_f64 v[18:19], v[10:11], v[31:32]
	v_mul_f64 v[31:32], v[22:23], v[31:32]
	v_fma_f64 v[2:3], v[2:3], 2.0, -v[39:40]
	s_waitcnt vmcnt(0)
	v_mul_f64 v[55:56], v[12:13], v[6:7]
	v_mul_f64 v[6:7], v[24:25], v[6:7]
	v_fma_f64 v[18:19], v[22:23], v[29:30], v[18:19]
	v_fma_f64 v[10:11], v[10:11], v[29:30], -v[31:32]
	v_fma_f64 v[22:23], v[24:25], v[4:5], v[55:56]
	v_mov_b32_e32 v24, 0x1200
	v_cndmask_b32_e64 v24, 0, v24, s[0:1]
	v_lshlrev_b32_e32 v25, 3, v47
	v_fma_f64 v[4:5], v[12:13], v[4:5], -v[6:7]
	v_add_f64 v[6:7], v[0:1], -v[43:44]
	v_add_f64 v[12:13], v[45:46], v[39:40]
	v_add3_u32 v47, 0, v24, v25
	v_add_f64 v[24:25], v[69:70], -v[73:74]
	v_add_f64 v[18:19], v[75:76], -v[18:19]
	;; [unrolled: 1-line block ×4, first 2 shown]
	ds_read_b64 v[31:32], v9
	ds_read_b64 v[43:44], v28
	v_fma_f64 v[0:1], v[0:1], 2.0, -v[6:7]
	v_fma_f64 v[29:30], v[45:46], 2.0, -v[12:13]
	s_waitcnt lgkmcnt(0)
	v_fma_f64 v[45:46], v[69:70], 2.0, -v[24:25]
	v_fma_f64 v[55:56], v[75:76], 2.0, -v[18:19]
	s_barrier
	v_fma_f64 v[37:38], v[37:38], 2.0, -v[22:23]
	v_add_f64 v[4:5], v[35:36], -v[4:5]
	ds_write2_b64 v47, v[0:1], v[29:30] offset1:144
	v_add_f64 v[29:30], v[24:25], v[10:11]
	v_add_u32_e32 v61, 0x800, v47
	v_add_f64 v[0:1], v[45:46], -v[55:56]
	v_fma_f64 v[55:56], v[71:72], 2.0, -v[53:54]
	ds_write2_b64 v61, v[6:7], v[12:13] offset0:32 offset1:176
	v_add_f64 v[39:40], v[16:17], -v[2:3]
	v_fma_f64 v[10:11], v[33:34], 2.0, -v[10:11]
	v_fma_f64 v[12:13], v[24:25], 2.0, -v[29:30]
	;; [unrolled: 1-line block ×3, first 2 shown]
	v_add_f64 v[24:25], v[55:56], -v[37:38]
	v_add_f64 v[37:38], v[53:54], v[4:5]
	v_lshlrev_b32_e32 v45, 3, v78
	v_add3_u32 v20, 0, v20, v45
	v_add_u32_e32 v62, 0x800, v20
	ds_write2_b64 v62, v[0:1], v[29:30] offset0:32 offset1:176
	v_fma_f64 v[45:46], v[57:58], 2.0, -v[41:42]
	ds_write2_b64 v20, v[6:7], v[12:13] offset1:144
	v_fma_f64 v[0:1], v[55:56], 2.0, -v[24:25]
	v_fma_f64 v[2:3], v[53:54], 2.0, -v[37:38]
	v_add_f64 v[53:54], v[31:32], -v[59:60]
	v_add_f64 v[55:56], v[43:44], -v[14:15]
	v_fma_f64 v[12:13], v[35:36], 2.0, -v[4:5]
	v_mul_u32_u24_e32 v6, 0x1200, v77
	v_lshlrev_b32_e32 v7, 3, v79
	v_add3_u32 v59, 0, v6, v7
	v_add_u32_e32 v60, 0x800, v59
	ds_write2_b64 v60, v[24:25], v[37:38] offset0:32 offset1:176
	v_fma_f64 v[31:32], v[31:32], 2.0, -v[53:54]
	v_fma_f64 v[33:34], v[43:44], 2.0, -v[55:56]
	v_add_f64 v[37:38], v[53:54], -v[18:19]
	v_add_f64 v[57:58], v[55:56], -v[22:23]
	v_fma_f64 v[29:30], v[16:17], 2.0, -v[39:40]
	ds_write2_b64 v59, v[0:1], v[2:3] offset1:144
	s_waitcnt lgkmcnt(0)
	s_barrier
	v_add_f64 v[35:36], v[31:32], -v[10:11]
	v_add_f64 v[43:44], v[33:34], -v[12:13]
	ds_read2st64_b64 v[0:3], v8 offset1:9
	ds_read2st64_b64 v[4:7], v8 offset0:18 offset1:21
	ds_read_b64 v[22:23], v9
	ds_read_b64 v[24:25], v28
	ds_read2st64_b64 v[12:15], v8 offset0:24 offset1:27
	ds_read2st64_b64 v[16:19], v8 offset0:12 offset1:15
	;; [unrolled: 1-line block ×3, first 2 shown]
	v_fma_f64 v[53:54], v[53:54], 2.0, -v[37:38]
	v_fma_f64 v[55:56], v[55:56], 2.0, -v[57:58]
	s_waitcnt lgkmcnt(0)
	v_fma_f64 v[31:32], v[31:32], 2.0, -v[35:36]
	v_fma_f64 v[33:34], v[33:34], 2.0, -v[43:44]
	s_barrier
	ds_write2_b64 v47, v[29:30], v[45:46] offset1:144
	ds_write2_b64 v61, v[39:40], v[41:42] offset0:32 offset1:176
	ds_write2_b64 v20, v[31:32], v[53:54] offset1:144
	ds_write2_b64 v62, v[35:36], v[37:38] offset0:32 offset1:176
	;; [unrolled: 2-line block ×3, first 2 shown]
	s_waitcnt lgkmcnt(0)
	s_barrier
	s_and_saveexec_b64 s[0:1], vcc
	s_cbranch_execz .LBB0_15
; %bb.14:
	v_mul_i32_i24_e32 v20, 3, v52
	v_lshlrev_b64 v[29:30], 4, v[20:21]
	v_mul_u32_u24_e32 v33, 3, v50
	v_lshlrev_b32_e32 v33, 4, v33
	v_mov_b32_e32 v37, s9
	v_add_co_u32_e32 v20, vcc, s8, v29
	v_add_co_u32_e64 v47, s[0:1], s8, v33
	v_addc_co_u32_e32 v42, vcc, v37, v30, vcc
	s_movk_i32 s4, 0x23a0
	v_addc_co_u32_e64 v52, s[0:1], 0, v37, s[0:1]
	v_add_co_u32_e32 v45, vcc, 0x23a0, v20
	v_add_co_u32_e64 v72, s[0:1], s4, v47
	v_addc_co_u32_e32 v46, vcc, 0, v42, vcc
	v_addc_co_u32_e64 v73, s[0:1], 0, v52, s[0:1]
	global_load_dwordx4 v[29:32], v[45:46], off offset:16
	global_load_dwordx4 v[33:36], v[72:73], off offset:32
	v_add_co_u32_e32 v41, vcc, 0x2000, v20
	v_mul_i32_i24_e32 v20, 3, v51
	v_lshlrev_b64 v[20:21], 4, v[20:21]
	s_movk_i32 s5, 0x2000
	v_add_co_u32_e64 v60, s[0:1], s8, v20
	v_addc_co_u32_e64 v61, s[0:1], v37, v21, s[0:1]
	v_add_co_u32_e64 v20, s[0:1], s5, v60
	v_addc_co_u32_e64 v21, s[0:1], 0, v61, s[0:1]
	v_addc_co_u32_e32 v42, vcc, 0, v42, vcc
	global_load_dwordx4 v[37:40], v[20:21], off offset:928
	s_nop 0
	global_load_dwordx4 v[41:44], v[41:42], off offset:928
	v_add_co_u32_e32 v20, vcc, s5, v47
	v_addc_co_u32_e32 v21, vcc, 0, v52, vcc
	global_load_dwordx4 v[52:55], v[20:21], off offset:928
	global_load_dwordx4 v[56:59], v[45:46], off offset:32
	v_add_co_u32_e32 v20, vcc, s4, v60
	v_addc_co_u32_e32 v21, vcc, 0, v61, vcc
	global_load_dwordx4 v[60:63], v[20:21], off offset:16
	global_load_dwordx4 v[64:67], v[20:21], off offset:32
	;; [unrolled: 1-line block ×3, first 2 shown]
	v_mul_i32_i24_e32 v45, 0xffffffd8, v50
	v_add_u32_e32 v47, v26, v45
	ds_read2st64_b64 v[72:75], v47 offset0:24 offset1:27
	s_movk_i32 s4, 0x6c0
	s_waitcnt vmcnt(8)
	v_mul_f64 v[45:46], v[12:13], v[31:32]
	s_waitcnt vmcnt(7)
	v_mul_f64 v[20:21], v[14:15], v[33:34]
	v_mul_f64 v[14:15], v[14:15], v[35:36]
	s_waitcnt lgkmcnt(0)
	v_fma_f64 v[45:46], v[72:73], v[29:30], -v[45:46]
	v_fma_f64 v[35:36], v[74:75], v[35:36], v[20:21]
	v_fma_f64 v[33:34], v[74:75], v[33:34], -v[14:15]
	v_mul_i32_i24_e32 v20, 0xffffffd8, v51
	v_add_u32_e32 v82, v27, v20
	s_waitcnt vmcnt(6)
	v_mul_f64 v[74:75], v[16:17], v[39:40]
	v_mul_f64 v[76:77], v[16:17], v[37:38]
	s_waitcnt vmcnt(5)
	v_mul_f64 v[78:79], v[18:19], v[41:42]
	v_mul_f64 v[80:81], v[18:19], v[43:44]
	;; [unrolled: 1-line block ×3, first 2 shown]
	ds_read2st64_b64 v[14:17], v47 offset0:12 offset1:15
	ds_read_b64 v[31:32], v28
	s_waitcnt lgkmcnt(1)
	v_fma_f64 v[37:38], v[14:15], v[37:38], -v[74:75]
	s_waitcnt vmcnt(4)
	v_mul_f64 v[74:75], v[2:3], v[52:53]
	v_mul_f64 v[2:3], v[2:3], v[54:55]
	v_fma_f64 v[43:44], v[16:17], v[43:44], v[78:79]
	v_fma_f64 v[16:17], v[16:17], v[41:42], -v[80:81]
	s_waitcnt vmcnt(3)
	v_mul_f64 v[41:42], v[10:11], v[56:57]
	v_mul_f64 v[10:11], v[10:11], v[58:59]
	v_fma_f64 v[72:73], v[12:13], v[29:30], v[18:19]
	ds_read2st64_b64 v[18:21], v47 offset0:30 offset1:33
	ds_read2st64_b64 v[26:29], v47 offset1:9
	v_fma_f64 v[39:40], v[14:15], v[39:40], v[76:77]
	ds_read2st64_b64 v[12:15], v47 offset0:18 offset1:21
	s_waitcnt vmcnt(2)
	v_mul_f64 v[76:77], v[6:7], v[62:63]
	s_waitcnt lgkmcnt(1)
	v_fma_f64 v[54:55], v[28:29], v[54:55], v[74:75]
	v_fma_f64 v[51:52], v[28:29], v[52:53], -v[2:3]
	s_waitcnt vmcnt(1)
	v_mul_f64 v[2:3], v[8:9], v[64:65]
	s_waitcnt lgkmcnt(0)
	v_mul_f64 v[28:29], v[14:15], v[62:63]
	v_mul_f64 v[8:9], v[8:9], v[66:67]
	v_fma_f64 v[41:42], v[20:21], v[58:59], v[41:42]
	v_fma_f64 v[10:11], v[20:21], v[56:57], -v[10:11]
	s_waitcnt vmcnt(0)
	v_mul_f64 v[20:21], v[4:5], v[70:71]
	v_mul_f64 v[56:57], v[12:13], v[70:71]
	v_fma_f64 v[14:15], v[14:15], v[60:61], -v[76:77]
	v_fma_f64 v[2:3], v[18:19], v[66:67], v[2:3]
	v_fma_f64 v[6:7], v[6:7], v[60:61], v[28:29]
	v_add_f64 v[28:29], v[31:32], -v[45:46]
	v_add_f64 v[45:46], v[24:25], -v[72:73]
	;; [unrolled: 1-line block ×4, first 2 shown]
	v_fma_f64 v[8:9], v[18:19], v[64:65], -v[8:9]
	ds_read_b64 v[62:63], v82
	v_fma_f64 v[12:13], v[12:13], v[68:69], -v[20:21]
	v_add_f64 v[60:61], v[39:40], -v[2:3]
	v_fma_f64 v[18:19], v[31:32], 2.0, -v[28:29]
	v_fma_f64 v[24:25], v[24:25], 2.0, -v[45:46]
	s_waitcnt lgkmcnt(0)
	v_add_f64 v[58:59], v[62:63], -v[14:15]
	v_fma_f64 v[14:15], v[16:17], 2.0, -v[10:11]
	v_fma_f64 v[16:17], v[43:44], 2.0, -v[41:42]
	v_add_f64 v[20:21], v[37:38], -v[8:9]
	v_fma_f64 v[43:44], v[4:5], v[68:69], v[56:57]
	v_add_f64 v[2:3], v[45:46], v[10:11]
	v_add_f64 v[30:31], v[22:23], -v[6:7]
	v_add_f64 v[56:57], v[26:27], -v[12:13]
	;; [unrolled: 1-line block ×6, first 2 shown]
	v_fma_f64 v[41:42], v[62:63], 2.0, -v[58:59]
	v_fma_f64 v[37:38], v[37:38], 2.0, -v[20:21]
	;; [unrolled: 1-line block ×3, first 2 shown]
	v_add_f64 v[45:46], v[51:52], -v[33:34]
	v_add_f64 v[64:65], v[0:1], -v[43:44]
	;; [unrolled: 1-line block ×3, first 2 shown]
	v_add_f64 v[10:11], v[30:31], v[20:21]
	v_fma_f64 v[16:17], v[28:29], 2.0, -v[4:5]
	v_fma_f64 v[20:21], v[18:19], 2.0, -v[8:9]
	;; [unrolled: 1-line block ×5, first 2 shown]
	v_add_f64 v[28:29], v[41:42], -v[37:38]
	v_fma_f64 v[58:59], v[26:27], 2.0, -v[56:57]
	v_fma_f64 v[38:39], v[51:52], 2.0, -v[45:46]
	;; [unrolled: 1-line block ×4, first 2 shown]
	v_add_f64 v[32:33], v[56:57], -v[32:33]
	v_fma_f64 v[62:63], v[22:23], 2.0, -v[30:31]
	v_fma_f64 v[22:23], v[30:31], 2.0, -v[10:11]
	v_add_f64 v[30:31], v[64:65], v[45:46]
	v_mad_u64_u32 v[46:47], s[0:1], s2, v50, 0
	v_fma_f64 v[36:37], v[41:42], 2.0, -v[28:29]
	v_add_f64 v[40:41], v[58:59], -v[38:39]
	v_add_f64 v[38:39], v[0:1], -v[43:44]
	v_mov_b32_e32 v42, v47
	v_fma_f64 v[44:45], v[56:57], 2.0, -v[32:33]
	v_mad_u64_u32 v[55:56], s[0:1], s3, v50, v[42:43]
	v_add_u32_e32 v57, 0x480, v50
	v_fma_f64 v[42:43], v[64:65], 2.0, -v[30:31]
	v_mov_b32_e32 v47, v55
	v_fma_f64 v[51:52], v[0:1], 2.0, -v[38:39]
	v_mov_b32_e32 v0, s13
	v_add_co_u32_e32 v55, vcc, s12, v48
	v_add_u32_e32 v48, 0x240, v50
	v_addc_co_u32_e32 v56, vcc, v0, v49, vcc
	v_lshlrev_b64 v[0:1], 4, v[46:47]
	v_mad_u64_u32 v[46:47], s[0:1], s2, v48, 0
	v_fma_f64 v[53:54], v[58:59], 2.0, -v[40:41]
	v_add_co_u32_e32 v0, vcc, v55, v0
	v_mad_u64_u32 v[47:48], s[0:1], s3, v48, v[47:48]
	v_mad_u64_u32 v[48:49], s[0:1], s2, v57, 0
	v_addc_co_u32_e32 v1, vcc, v56, v1, vcc
	global_store_dwordx4 v[0:1], v[51:54], off
	v_lshlrev_b64 v[0:1], 4, v[46:47]
	v_mov_b32_e32 v46, v49
	v_mad_u64_u32 v[46:47], s[0:1], s3, v57, v[46:47]
	v_add_co_u32_e32 v0, vcc, v55, v0
	v_addc_co_u32_e32 v1, vcc, v56, v1, vcc
	global_store_dwordx4 v[0:1], v[42:45], off
	v_mov_b32_e32 v49, v46
	v_add_u32_e32 v44, 0x6c0, v50
	v_lshlrev_b64 v[0:1], 4, v[48:49]
	v_mad_u64_u32 v[42:43], s[0:1], s2, v44, 0
	v_add_co_u32_e32 v0, vcc, v55, v0
	v_addc_co_u32_e32 v1, vcc, v56, v1, vcc
	global_store_dwordx4 v[0:1], v[38:41], off
	v_mov_b32_e32 v0, v43
	v_mad_u64_u32 v[0:1], s[0:1], s3, v44, v[0:1]
	v_add_f64 v[26:27], v[62:63], -v[34:35]
	v_add_u32_e32 v40, 0xc0, v50
	v_mov_b32_e32 v43, v0
	v_lshlrev_b64 v[0:1], 4, v[42:43]
	v_mad_u64_u32 v[38:39], s[0:1], s2, v40, 0
	v_add_co_u32_e32 v0, vcc, v55, v0
	v_addc_co_u32_e32 v1, vcc, v56, v1, vcc
	global_store_dwordx4 v[0:1], v[30:33], off
	v_fma_f64 v[34:35], v[62:63], 2.0, -v[26:27]
	v_or_b32_e32 v32, 0x300, v50
	v_mad_u64_u32 v[39:40], s[0:1], s3, v40, v[39:40]
	v_mad_u64_u32 v[30:31], s[0:1], s2, v32, 0
	v_lshlrev_b64 v[0:1], 4, v[38:39]
	v_add_u32_e32 v38, 0x540, v50
	v_mad_u64_u32 v[31:32], s[0:1], s3, v32, v[31:32]
	v_add_co_u32_e32 v0, vcc, v55, v0
	v_addc_co_u32_e32 v1, vcc, v56, v1, vcc
	global_store_dwordx4 v[0:1], v[34:37], off
	v_lshlrev_b64 v[0:1], 4, v[30:31]
	v_mad_u64_u32 v[32:33], s[0:1], s2, v38, 0
	v_add_co_u32_e32 v0, vcc, v55, v0
	v_addc_co_u32_e32 v1, vcc, v56, v1, vcc
	global_store_dwordx4 v[0:1], v[22:25], off
	v_mov_b32_e32 v30, v33
	v_add_u32_e32 v24, 0x780, v50
	v_mad_u64_u32 v[22:23], s[0:1], s2, v24, 0
	v_mad_u64_u32 v[30:31], s[0:1], s3, v38, v[30:31]
	;; [unrolled: 1-line block ×3, first 2 shown]
	v_mov_b32_e32 v33, v30
	v_add_u32_e32 v24, 0x180, v50
	s_mov_b32 s0, 0x38e38e39
	v_lshlrev_b64 v[0:1], 4, v[32:33]
	v_mul_hi_u32 v25, v24, s0
	v_add_co_u32_e32 v0, vcc, v55, v0
	v_addc_co_u32_e32 v1, vcc, v56, v1, vcc
	global_store_dwordx4 v[0:1], v[26:29], off
	v_lshlrev_b64 v[0:1], 4, v[22:23]
	v_lshrrev_b32_e32 v22, 7, v25
	v_mad_u32_u24 v26, v22, s4, v24
	v_mad_u64_u32 v[22:23], s[0:1], s2, v26, 0
	v_add_u32_e32 v27, 0x240, v26
	v_add_co_u32_e32 v0, vcc, v55, v0
	v_mad_u64_u32 v[23:24], s[0:1], s3, v26, v[23:24]
	v_mad_u64_u32 v[24:25], s[0:1], s2, v27, 0
	v_addc_co_u32_e32 v1, vcc, v56, v1, vcc
	global_store_dwordx4 v[0:1], v[10:13], off
	v_lshlrev_b64 v[0:1], 4, v[22:23]
	v_mov_b32_e32 v10, v25
	v_mad_u64_u32 v[10:11], s[0:1], s3, v27, v[10:11]
	v_add_u32_e32 v12, 0x480, v26
	v_add_co_u32_e32 v0, vcc, v55, v0
	v_mov_b32_e32 v25, v10
	v_mad_u64_u32 v[10:11], s[0:1], s2, v12, 0
	v_addc_co_u32_e32 v1, vcc, v56, v1, vcc
	global_store_dwordx4 v[0:1], v[18:21], off
	v_mad_u64_u32 v[11:12], s[0:1], s3, v12, v[11:12]
	v_add_u32_e32 v18, 0x6c0, v26
	v_lshlrev_b64 v[0:1], 4, v[24:25]
	v_mad_u64_u32 v[12:13], s[0:1], s2, v18, 0
	v_add_co_u32_e32 v0, vcc, v55, v0
	v_addc_co_u32_e32 v1, vcc, v56, v1, vcc
	global_store_dwordx4 v[0:1], v[14:17], off
	v_lshlrev_b64 v[0:1], 4, v[10:11]
	v_mov_b32_e32 v10, v13
	v_mad_u64_u32 v[10:11], s[0:1], s3, v18, v[10:11]
	v_add_co_u32_e32 v0, vcc, v55, v0
	v_addc_co_u32_e32 v1, vcc, v56, v1, vcc
	v_mov_b32_e32 v13, v10
	global_store_dwordx4 v[0:1], v[6:9], off
	v_lshlrev_b64 v[0:1], 4, v[12:13]
	v_add_co_u32_e32 v0, vcc, v55, v0
	v_addc_co_u32_e32 v1, vcc, v56, v1, vcc
	global_store_dwordx4 v[0:1], v[2:5], off
.LBB0_15:
	s_endpgm
	.section	.rodata,"a",@progbits
	.p2align	6, 0x0
	.amdhsa_kernel fft_rtc_back_len2304_factors_6_6_4_4_4_wgs_192_tpt_192_halfLds_dp_ip_CI_sbrr_dirReg
		.amdhsa_group_segment_fixed_size 0
		.amdhsa_private_segment_fixed_size 0
		.amdhsa_kernarg_size 88
		.amdhsa_user_sgpr_count 6
		.amdhsa_user_sgpr_private_segment_buffer 1
		.amdhsa_user_sgpr_dispatch_ptr 0
		.amdhsa_user_sgpr_queue_ptr 0
		.amdhsa_user_sgpr_kernarg_segment_ptr 1
		.amdhsa_user_sgpr_dispatch_id 0
		.amdhsa_user_sgpr_flat_scratch_init 0
		.amdhsa_user_sgpr_private_segment_size 0
		.amdhsa_uses_dynamic_stack 0
		.amdhsa_system_sgpr_private_segment_wavefront_offset 0
		.amdhsa_system_sgpr_workgroup_id_x 1
		.amdhsa_system_sgpr_workgroup_id_y 0
		.amdhsa_system_sgpr_workgroup_id_z 0
		.amdhsa_system_sgpr_workgroup_info 0
		.amdhsa_system_vgpr_workitem_id 0
		.amdhsa_next_free_vgpr 83
		.amdhsa_next_free_sgpr 24
		.amdhsa_reserve_vcc 1
		.amdhsa_reserve_flat_scratch 0
		.amdhsa_float_round_mode_32 0
		.amdhsa_float_round_mode_16_64 0
		.amdhsa_float_denorm_mode_32 3
		.amdhsa_float_denorm_mode_16_64 3
		.amdhsa_dx10_clamp 1
		.amdhsa_ieee_mode 1
		.amdhsa_fp16_overflow 0
		.amdhsa_exception_fp_ieee_invalid_op 0
		.amdhsa_exception_fp_denorm_src 0
		.amdhsa_exception_fp_ieee_div_zero 0
		.amdhsa_exception_fp_ieee_overflow 0
		.amdhsa_exception_fp_ieee_underflow 0
		.amdhsa_exception_fp_ieee_inexact 0
		.amdhsa_exception_int_div_zero 0
	.end_amdhsa_kernel
	.text
.Lfunc_end0:
	.size	fft_rtc_back_len2304_factors_6_6_4_4_4_wgs_192_tpt_192_halfLds_dp_ip_CI_sbrr_dirReg, .Lfunc_end0-fft_rtc_back_len2304_factors_6_6_4_4_4_wgs_192_tpt_192_halfLds_dp_ip_CI_sbrr_dirReg
                                        ; -- End function
	.section	.AMDGPU.csdata,"",@progbits
; Kernel info:
; codeLenInByte = 8668
; NumSgprs: 28
; NumVgprs: 83
; ScratchSize: 0
; MemoryBound: 1
; FloatMode: 240
; IeeeMode: 1
; LDSByteSize: 0 bytes/workgroup (compile time only)
; SGPRBlocks: 3
; VGPRBlocks: 20
; NumSGPRsForWavesPerEU: 28
; NumVGPRsForWavesPerEU: 83
; Occupancy: 3
; WaveLimiterHint : 1
; COMPUTE_PGM_RSRC2:SCRATCH_EN: 0
; COMPUTE_PGM_RSRC2:USER_SGPR: 6
; COMPUTE_PGM_RSRC2:TRAP_HANDLER: 0
; COMPUTE_PGM_RSRC2:TGID_X_EN: 1
; COMPUTE_PGM_RSRC2:TGID_Y_EN: 0
; COMPUTE_PGM_RSRC2:TGID_Z_EN: 0
; COMPUTE_PGM_RSRC2:TIDIG_COMP_CNT: 0
	.type	__hip_cuid_2d7716f588f2fbd3,@object ; @__hip_cuid_2d7716f588f2fbd3
	.section	.bss,"aw",@nobits
	.globl	__hip_cuid_2d7716f588f2fbd3
__hip_cuid_2d7716f588f2fbd3:
	.byte	0                               ; 0x0
	.size	__hip_cuid_2d7716f588f2fbd3, 1

	.ident	"AMD clang version 19.0.0git (https://github.com/RadeonOpenCompute/llvm-project roc-6.4.0 25133 c7fe45cf4b819c5991fe208aaa96edf142730f1d)"
	.section	".note.GNU-stack","",@progbits
	.addrsig
	.addrsig_sym __hip_cuid_2d7716f588f2fbd3
	.amdgpu_metadata
---
amdhsa.kernels:
  - .args:
      - .actual_access:  read_only
        .address_space:  global
        .offset:         0
        .size:           8
        .value_kind:     global_buffer
      - .offset:         8
        .size:           8
        .value_kind:     by_value
      - .actual_access:  read_only
        .address_space:  global
        .offset:         16
        .size:           8
        .value_kind:     global_buffer
      - .actual_access:  read_only
        .address_space:  global
        .offset:         24
        .size:           8
        .value_kind:     global_buffer
      - .offset:         32
        .size:           8
        .value_kind:     by_value
      - .actual_access:  read_only
        .address_space:  global
        .offset:         40
        .size:           8
        .value_kind:     global_buffer
      - .actual_access:  read_only
        .address_space:  global
        .offset:         48
        .size:           8
        .value_kind:     global_buffer
      - .offset:         56
        .size:           4
        .value_kind:     by_value
      - .actual_access:  read_only
        .address_space:  global
        .offset:         64
        .size:           8
        .value_kind:     global_buffer
      - .actual_access:  read_only
        .address_space:  global
        .offset:         72
        .size:           8
        .value_kind:     global_buffer
      - .address_space:  global
        .offset:         80
        .size:           8
        .value_kind:     global_buffer
    .group_segment_fixed_size: 0
    .kernarg_segment_align: 8
    .kernarg_segment_size: 88
    .language:       OpenCL C
    .language_version:
      - 2
      - 0
    .max_flat_workgroup_size: 192
    .name:           fft_rtc_back_len2304_factors_6_6_4_4_4_wgs_192_tpt_192_halfLds_dp_ip_CI_sbrr_dirReg
    .private_segment_fixed_size: 0
    .sgpr_count:     28
    .sgpr_spill_count: 0
    .symbol:         fft_rtc_back_len2304_factors_6_6_4_4_4_wgs_192_tpt_192_halfLds_dp_ip_CI_sbrr_dirReg.kd
    .uniform_work_group_size: 1
    .uses_dynamic_stack: false
    .vgpr_count:     83
    .vgpr_spill_count: 0
    .wavefront_size: 64
amdhsa.target:   amdgcn-amd-amdhsa--gfx906
amdhsa.version:
  - 1
  - 2
...

	.end_amdgpu_metadata
